;; amdgpu-corpus repo=ROCm/rocFFT kind=compiled arch=gfx906 opt=O3
	.text
	.amdgcn_target "amdgcn-amd-amdhsa--gfx906"
	.amdhsa_code_object_version 6
	.protected	bluestein_single_fwd_len112_dim1_dp_op_CI_CI ; -- Begin function bluestein_single_fwd_len112_dim1_dp_op_CI_CI
	.globl	bluestein_single_fwd_len112_dim1_dp_op_CI_CI
	.p2align	8
	.type	bluestein_single_fwd_len112_dim1_dp_op_CI_CI,@function
bluestein_single_fwd_len112_dim1_dp_op_CI_CI: ; @bluestein_single_fwd_len112_dim1_dp_op_CI_CI
; %bb.0:
	s_load_dwordx4 s[0:3], s[4:5], 0x28
	v_lshrrev_b32_e32 v1, 4, v0
	v_lshl_or_b32 v88, s6, 4, v1
	v_mov_b32_e32 v89, 0
	s_waitcnt lgkmcnt(0)
	v_cmp_gt_u64_e32 vcc, s[0:1], v[88:89]
	s_and_saveexec_b64 s[0:1], vcc
	s_cbranch_execz .LBB0_15
; %bb.1:
	s_load_dwordx2 s[6:7], s[4:5], 0x0
	s_load_dwordx2 s[12:13], s[4:5], 0x38
	v_and_b32_e32 v91, 15, v0
	v_mul_u32_u24_e32 v92, 0x70, v1
	v_cmp_gt_u32_e32 vcc, 7, v91
	v_lshlrev_b32_e32 v89, 4, v91
	v_or_b32_e32 v64, v92, v91
	v_add_lshl_u32 v48, v92, v91, 4
	v_or_b32_e32 v90, 56, v91
	s_and_saveexec_b64 s[14:15], vcc
	s_cbranch_execz .LBB0_3
; %bb.2:
	s_load_dwordx2 s[0:1], s[4:5], 0x18
	v_mov_b32_e32 v69, 0xe0
	s_waitcnt lgkmcnt(0)
	s_load_dwordx4 s[8:11], s[0:1], 0x0
	s_waitcnt lgkmcnt(0)
	v_mad_u64_u32 v[0:1], s[0:1], s10, v88, 0
	v_mad_u64_u32 v[2:3], s[0:1], s8, v91, 0
	s_mul_i32 s10, s8, 0x70
	v_mad_u64_u32 v[4:5], s[0:1], s11, v88, v[1:2]
	s_mul_hi_u32 s11, s8, 0x70
	v_mad_u64_u32 v[5:6], s[0:1], s9, v91, v[3:4]
	v_mov_b32_e32 v1, v4
	v_lshlrev_b64 v[0:1], 4, v[0:1]
	v_mov_b32_e32 v3, v5
	v_mov_b32_e32 v6, s3
	v_lshlrev_b64 v[2:3], 4, v[2:3]
	v_add_co_u32_e64 v67, s[0:1], s2, v0
	v_addc_co_u32_e64 v68, s[0:1], v6, v1, s[0:1]
	v_add_co_u32_e64 v16, s[0:1], v67, v2
	v_addc_co_u32_e64 v17, s[0:1], v68, v3, s[0:1]
	s_mul_i32 s0, s9, 0x70
	s_add_i32 s11, s11, s0
	v_mov_b32_e32 v0, s11
	v_add_co_u32_e64 v18, s[0:1], s10, v16
	v_addc_co_u32_e64 v19, s[0:1], v17, v0, s[0:1]
	global_load_dwordx4 v[0:3], v[16:17], off
	global_load_dwordx4 v[4:7], v[18:19], off
	global_load_dwordx4 v[8:11], v89, s[6:7]
	global_load_dwordx4 v[12:15], v89, s[6:7] offset:112
	v_mov_b32_e32 v16, s11
	v_add_co_u32_e64 v32, s[0:1], s10, v18
	v_addc_co_u32_e64 v33, s[0:1], v19, v16, s[0:1]
	v_add_co_u32_e64 v34, s[0:1], s10, v32
	v_addc_co_u32_e64 v35, s[0:1], v33, v16, s[0:1]
	global_load_dwordx4 v[16:19], v[32:33], off
	global_load_dwordx4 v[20:23], v[34:35], off
	global_load_dwordx4 v[24:27], v89, s[6:7] offset:224
	global_load_dwordx4 v[28:31], v89, s[6:7] offset:336
	v_mov_b32_e32 v32, s11
	v_add_co_u32_e64 v53, s[0:1], s10, v34
	v_addc_co_u32_e64 v54, s[0:1], v35, v32, s[0:1]
	v_mad_u64_u32 v[61:62], s[0:1], s8, v90, 0
	global_load_dwordx4 v[32:35], v89, s[6:7] offset:448
	global_load_dwordx4 v[36:39], v[53:54], off
	global_load_dwordx4 v[40:43], v89, s[6:7] offset:560
	global_load_dwordx4 v[44:47], v89, s[6:7] offset:672
	;; [unrolled: 1-line block ×3, first 2 shown]
	v_mov_b32_e32 v56, s11
	v_mov_b32_e32 v55, v62
	v_mad_u64_u32 v[62:63], s[0:1], s9, v90, v[55:56]
	v_add_co_u32_e64 v57, s[0:1], s10, v53
	v_addc_co_u32_e64 v58, s[0:1], v54, v56, s[0:1]
	v_mov_b32_e32 v59, s11
	v_add_co_u32_e64 v65, s[0:1], s10, v57
	v_addc_co_u32_e64 v66, s[0:1], v58, v59, s[0:1]
	global_load_dwordx4 v[53:56], v[57:58], off
	v_lshlrev_b64 v[61:62], 4, v[61:62]
	global_load_dwordx4 v[57:60], v[65:66], off
	v_mov_b32_e32 v63, s11
	v_add_co_u32_e64 v61, s[0:1], v67, v61
	v_add_co_u32_e64 v73, s[2:3], s10, v65
	v_addc_co_u32_e64 v74, s[2:3], v66, v63, s[2:3]
	v_addc_co_u32_e64 v62, s[0:1], v68, v62, s[0:1]
	v_mad_u64_u32 v[77:78], s[2:3], s8, v69, v[73:74]
	global_load_dwordx4 v[65:68], v[61:62], off
	global_load_dwordx4 v[69:72], v[73:74], off
	s_mulk_i32 s9, 0xe0
	v_add_u32_e32 v78, s9, v78
	global_load_dwordx4 v[73:76], v[77:78], off
	s_waitcnt vmcnt(15)
	v_mul_f64 v[61:62], v[2:3], v[10:11]
	v_mul_f64 v[10:11], v[0:1], v[10:11]
	s_waitcnt vmcnt(14)
	v_mul_f64 v[79:80], v[6:7], v[14:15]
	v_mul_f64 v[14:15], v[4:5], v[14:15]
	v_fma_f64 v[0:1], v[0:1], v[8:9], v[61:62]
	v_fma_f64 v[2:3], v[2:3], v[8:9], -v[10:11]
	s_waitcnt vmcnt(11)
	v_mul_f64 v[81:82], v[18:19], v[26:27]
	v_mul_f64 v[26:27], v[16:17], v[26:27]
	s_waitcnt vmcnt(10)
	v_mul_f64 v[83:84], v[22:23], v[30:31]
	v_mul_f64 v[30:31], v[20:21], v[30:31]
	v_fma_f64 v[4:5], v[4:5], v[12:13], v[79:80]
	v_fma_f64 v[6:7], v[6:7], v[12:13], -v[14:15]
	s_waitcnt vmcnt(8)
	v_mul_f64 v[85:86], v[38:39], v[34:35]
	v_mul_f64 v[34:35], v[36:37], v[34:35]
	v_fma_f64 v[8:9], v[16:17], v[24:25], v[81:82]
	v_fma_f64 v[10:11], v[18:19], v[24:25], -v[26:27]
	v_fma_f64 v[12:13], v[20:21], v[28:29], v[83:84]
	v_fma_f64 v[14:15], v[22:23], v[28:29], -v[30:31]
	v_mov_b32_e32 v28, s11
	global_load_dwordx4 v[20:23], v89, s[6:7] offset:896
	global_load_dwordx4 v[24:27], v89, s[6:7] offset:1008
	v_fma_f64 v[16:17], v[36:37], v[32:33], v[85:86]
	v_fma_f64 v[18:19], v[38:39], v[32:33], -v[34:35]
	v_add_co_u32_e64 v32, s[0:1], s10, v77
	v_addc_co_u32_e64 v33, s[0:1], v78, v28, s[0:1]
	v_mov_b32_e32 v34, s11
	v_add_co_u32_e64 v61, s[0:1], s10, v32
	global_load_dwordx4 v[28:31], v[32:33], off
	v_addc_co_u32_e64 v62, s[0:1], v33, v34, s[0:1]
	s_waitcnt vmcnt(7)
	v_mul_f64 v[85:86], v[55:56], v[42:43]
	v_mul_f64 v[42:43], v[53:54], v[42:43]
	s_waitcnt vmcnt(6)
	v_mul_f64 v[113:114], v[59:60], v[46:47]
	v_mul_f64 v[46:47], v[57:58], v[46:47]
	global_load_dwordx4 v[32:35], v[61:62], off
	global_load_dwordx4 v[36:39], v89, s[6:7] offset:1120
	global_load_dwordx4 v[77:80], v89, s[6:7] offset:1232
	v_add_co_u32_e64 v61, s[0:1], s10, v61
	v_addc_co_u32_e64 v62, s[0:1], v62, v63, s[0:1]
	global_load_dwordx4 v[81:84], v[61:62], off
	v_add_co_u32_e64 v61, s[0:1], s10, v61
	v_addc_co_u32_e64 v62, s[0:1], v62, v63, s[0:1]
	global_load_dwordx4 v[93:96], v[61:62], off
	global_load_dwordx4 v[97:100], v89, s[6:7] offset:1344
	global_load_dwordx4 v[101:104], v89, s[6:7] offset:1456
	v_add_co_u32_e64 v61, s[0:1], s10, v61
	v_addc_co_u32_e64 v62, s[0:1], v62, v63, s[0:1]
	global_load_dwordx4 v[105:108], v[61:62], off
	v_add_co_u32_e64 v61, s[0:1], s10, v61
	v_addc_co_u32_e64 v62, s[0:1], v62, v63, s[0:1]
	v_fma_f64 v[53:54], v[53:54], v[40:41], v[85:86]
	v_fma_f64 v[55:56], v[55:56], v[40:41], -v[42:43]
	global_load_dwordx4 v[40:43], v89, s[6:7] offset:1568
	global_load_dwordx4 v[109:112], v[61:62], off
	v_fma_f64 v[57:58], v[57:58], v[44:45], v[113:114]
	v_fma_f64 v[59:60], v[59:60], v[44:45], -v[46:47]
	global_load_dwordx4 v[44:47], v89, s[6:7] offset:1680
	s_waitcnt vmcnt(15)
	v_mul_f64 v[61:62], v[71:72], v[51:52]
	v_mul_f64 v[51:52], v[69:70], v[51:52]
	v_lshlrev_b32_e32 v63, 4, v64
	ds_write_b128 v63, v[0:3]
	ds_write_b128 v48, v[4:7] offset:112
	v_fma_f64 v[0:1], v[69:70], v[49:50], v[61:62]
	v_fma_f64 v[2:3], v[71:72], v[49:50], -v[51:52]
	v_lshl_add_u32 v49, v92, 4, v89
	ds_write_b128 v49, v[8:11] offset:224
	ds_write_b128 v49, v[12:15] offset:336
	;; [unrolled: 1-line block ×6, first 2 shown]
	s_waitcnt vmcnt(13)
	v_mul_f64 v[0:1], v[67:68], v[22:23]
	v_mul_f64 v[2:3], v[65:66], v[22:23]
	s_waitcnt vmcnt(12)
	v_mul_f64 v[4:5], v[75:76], v[26:27]
	v_mul_f64 v[6:7], v[73:74], v[26:27]
	v_fma_f64 v[0:1], v[65:66], v[20:21], v[0:1]
	v_fma_f64 v[2:3], v[67:68], v[20:21], -v[2:3]
	v_fma_f64 v[4:5], v[73:74], v[24:25], v[4:5]
	v_fma_f64 v[6:7], v[75:76], v[24:25], -v[6:7]
	s_waitcnt vmcnt(9)
	v_mul_f64 v[8:9], v[30:31], v[38:39]
	v_mul_f64 v[10:11], v[28:29], v[38:39]
	s_waitcnt vmcnt(8)
	v_mul_f64 v[12:13], v[34:35], v[79:80]
	v_mul_f64 v[14:15], v[32:33], v[79:80]
	v_fma_f64 v[8:9], v[28:29], v[36:37], v[8:9]
	v_fma_f64 v[10:11], v[30:31], v[36:37], -v[10:11]
	s_waitcnt vmcnt(5)
	v_mul_f64 v[16:17], v[83:84], v[99:100]
	v_mul_f64 v[18:19], v[81:82], v[99:100]
	s_waitcnt vmcnt(4)
	v_mul_f64 v[20:21], v[95:96], v[103:104]
	v_mul_f64 v[22:23], v[93:94], v[103:104]
	v_fma_f64 v[12:13], v[32:33], v[77:78], v[12:13]
	v_fma_f64 v[14:15], v[34:35], v[77:78], -v[14:15]
	v_fma_f64 v[16:17], v[81:82], v[97:98], v[16:17]
	v_fma_f64 v[18:19], v[83:84], v[97:98], -v[18:19]
	;; [unrolled: 2-line block ×3, first 2 shown]
	s_waitcnt vmcnt(2)
	v_mul_f64 v[24:25], v[107:108], v[42:43]
	v_mul_f64 v[26:27], v[105:106], v[42:43]
	s_waitcnt vmcnt(0)
	v_mul_f64 v[28:29], v[111:112], v[46:47]
	v_mul_f64 v[30:31], v[109:110], v[46:47]
	v_fma_f64 v[24:25], v[105:106], v[40:41], v[24:25]
	v_fma_f64 v[26:27], v[107:108], v[40:41], -v[26:27]
	v_fma_f64 v[28:29], v[109:110], v[44:45], v[28:29]
	v_fma_f64 v[30:31], v[111:112], v[44:45], -v[30:31]
	ds_write_b128 v49, v[0:3] offset:896
	ds_write_b128 v49, v[4:7] offset:1008
	;; [unrolled: 1-line block ×8, first 2 shown]
.LBB0_3:
	s_or_b64 exec, exec, s[14:15]
	s_load_dwordx2 s[0:1], s[4:5], 0x20
	s_load_dwordx2 s[8:9], s[4:5], 0x8
	v_lshlrev_b32_e32 v93, 4, v92
	s_waitcnt lgkmcnt(0)
	s_barrier
	s_waitcnt lgkmcnt(0)
                                        ; implicit-def: $vgpr50_vgpr51
                                        ; implicit-def: $vgpr30_vgpr31
                                        ; implicit-def: $vgpr18_vgpr19
                                        ; implicit-def: $vgpr2_vgpr3
                                        ; implicit-def: $vgpr60_vgpr61
                                        ; implicit-def: $vgpr44_vgpr45
                                        ; implicit-def: $vgpr52_vgpr53
                                        ; implicit-def: $vgpr32_vgpr33
                                        ; implicit-def: $vgpr40_vgpr41
                                        ; implicit-def: $vgpr36_vgpr37
                                        ; implicit-def: $vgpr24_vgpr25
                                        ; implicit-def: $vgpr12_vgpr13
                                        ; implicit-def: $vgpr20_vgpr21
                                        ; implicit-def: $vgpr4_vgpr5
                                        ; implicit-def: $vgpr8_vgpr9
                                        ; implicit-def: $vgpr56_vgpr57
	s_and_saveexec_b64 s[2:3], vcc
	s_cbranch_execz .LBB0_5
; %bb.4:
	v_lshlrev_b32_e32 v0, 4, v64
	v_lshl_add_u32 v49, v91, 4, v93
	ds_read_b128 v[0:3], v0
	ds_read_b128 v[8:11], v49 offset:224
	ds_read_b128 v[4:7], v49 offset:336
	;; [unrolled: 1-line block ×15, first 2 shown]
.LBB0_5:
	s_or_b64 exec, exec, s[2:3]
	s_waitcnt lgkmcnt(8)
	v_add_f64 v[36:37], v[0:1], -v[36:37]
	v_add_f64 v[38:39], v[2:3], -v[38:39]
	s_waitcnt lgkmcnt(4)
	v_add_f64 v[52:53], v[20:21], -v[52:53]
	v_add_f64 v[54:55], v[22:23], -v[54:55]
	;; [unrolled: 1-line block ×4, first 2 shown]
	s_waitcnt lgkmcnt(2)
	v_add_f64 v[60:61], v[16:17], -v[60:61]
	v_add_f64 v[62:63], v[18:19], -v[62:63]
	v_fma_f64 v[0:1], v[0:1], 2.0, -v[36:37]
	v_fma_f64 v[2:3], v[2:3], 2.0, -v[38:39]
	;; [unrolled: 1-line block ×8, first 2 shown]
	v_add_f64 v[32:33], v[4:5], -v[32:33]
	v_add_f64 v[34:35], v[6:7], -v[34:35]
	s_waitcnt lgkmcnt(0)
	v_add_f64 v[48:49], v[24:25], -v[48:49]
	v_add_f64 v[50:51], v[26:27], -v[50:51]
	;; [unrolled: 1-line block ×5, first 2 shown]
	v_add_f64 v[52:53], v[38:39], v[52:53]
	v_fma_f64 v[4:5], v[4:5], 2.0, -v[32:33]
	v_fma_f64 v[6:7], v[6:7], 2.0, -v[34:35]
	;; [unrolled: 1-line block ×4, first 2 shown]
	v_add_f64 v[16:17], v[8:9], -v[16:17]
	v_add_f64 v[67:68], v[10:11], -v[18:19]
	;; [unrolled: 1-line block ×3, first 2 shown]
	v_add_f64 v[60:61], v[60:61], v[42:43]
	v_add_f64 v[28:29], v[56:57], -v[28:29]
	v_add_f64 v[30:31], v[58:59], -v[30:31]
	;; [unrolled: 1-line block ×4, first 2 shown]
	v_fma_f64 v[71:72], v[0:1], 2.0, -v[20:21]
	v_fma_f64 v[73:74], v[2:3], 2.0, -v[65:66]
	;; [unrolled: 1-line block ×8, first 2 shown]
	v_add_f64 v[24:25], v[4:5], -v[24:25]
	v_add_f64 v[26:27], v[6:7], -v[26:27]
	s_mov_b32 s2, 0x667f3bcd
	s_mov_b32 s3, 0xbfe6a09e
	v_fma_f64 v[56:57], v[56:57], 2.0, -v[28:29]
	v_fma_f64 v[58:59], v[58:59], 2.0, -v[30:31]
	;; [unrolled: 1-line block ×4, first 2 shown]
	v_add_f64 v[46:47], v[28:29], -v[46:47]
	v_add_f64 v[44:45], v[44:45], v[30:31]
	v_add_f64 v[50:51], v[32:33], -v[50:51]
	v_add_f64 v[48:49], v[48:49], v[34:35]
	v_fma_f64 v[75:76], v[4:5], 2.0, -v[24:25]
	v_fma_f64 v[77:78], v[6:7], 2.0, -v[26:27]
	v_fma_f64 v[4:5], v[8:9], s[2:3], v[36:37]
	v_fma_f64 v[6:7], v[10:11], s[2:3], v[38:39]
	s_mov_b32 s5, 0x3fe6a09e
	s_mov_b32 s4, s2
	v_add_f64 v[40:41], v[56:57], -v[12:13]
	v_add_f64 v[42:43], v[58:59], -v[14:15]
	v_fma_f64 v[28:29], v[28:29], 2.0, -v[46:47]
	v_fma_f64 v[30:31], v[30:31], 2.0, -v[44:45]
	;; [unrolled: 1-line block ×4, first 2 shown]
	v_add_f64 v[18:19], v[73:74], -v[2:3]
	v_fma_f64 v[14:15], v[69:70], s[4:5], v[54:55]
	v_fma_f64 v[79:80], v[60:61], s[4:5], v[52:53]
	v_fma_f64 v[2:3], v[10:11], s[2:3], v[4:5]
	v_fma_f64 v[22:23], v[8:9], s[4:5], v[6:7]
	v_fma_f64 v[56:57], v[56:57], 2.0, -v[40:41]
	v_add_f64 v[4:5], v[20:21], -v[67:68]
	v_add_f64 v[62:63], v[65:66], v[16:17]
	v_fma_f64 v[58:59], v[58:59], 2.0, -v[42:43]
	v_fma_f64 v[67:68], v[60:61], s[2:3], v[14:15]
	v_fma_f64 v[69:70], v[69:70], s[4:5], v[79:80]
	v_fma_f64 v[8:9], v[36:37], 2.0, -v[2:3]
	v_fma_f64 v[16:17], v[38:39], 2.0, -v[22:23]
	v_fma_f64 v[36:37], v[32:33], s[2:3], v[28:29]
	v_fma_f64 v[38:39], v[34:35], s[2:3], v[30:31]
	v_add_f64 v[0:1], v[71:72], -v[0:1]
	v_fma_f64 v[12:13], v[73:74], 2.0, -v[18:19]
	v_fma_f64 v[10:11], v[20:21], 2.0, -v[4:5]
	;; [unrolled: 1-line block ×5, first 2 shown]
	v_fma_f64 v[52:53], v[50:51], s[4:5], v[46:47]
	v_fma_f64 v[54:55], v[48:49], s[4:5], v[44:45]
	v_add_f64 v[65:66], v[56:57], -v[75:76]
	v_fma_f64 v[73:74], v[34:35], s[2:3], v[36:37]
	v_fma_f64 v[75:76], v[32:33], s[4:5], v[38:39]
	v_fma_f64 v[6:7], v[71:72], 2.0, -v[0:1]
	v_add_f64 v[71:72], v[58:59], -v[77:78]
	v_add_f64 v[77:78], v[40:41], -v[26:27]
	v_add_f64 v[79:80], v[24:25], v[42:43]
	v_fma_f64 v[48:49], v[48:49], s[2:3], v[52:53]
	v_fma_f64 v[50:51], v[50:51], s[4:5], v[54:55]
	v_fma_f64 v[28:29], v[28:29], 2.0, -v[73:74]
	v_fma_f64 v[30:31], v[30:31], 2.0, -v[75:76]
	s_mov_b32 s10, 0xcf328d46
	s_mov_b32 s11, 0xbfed906b
	v_fma_f64 v[38:39], v[40:41], 2.0, -v[77:78]
	v_fma_f64 v[36:37], v[42:43], 2.0, -v[79:80]
	;; [unrolled: 1-line block ×4, first 2 shown]
	v_fma_f64 v[32:33], v[28:29], s[10:11], v[8:9]
	v_fma_f64 v[34:35], v[30:31], s[10:11], v[16:17]
	s_mov_b32 s14, 0xa6aea964
	s_mov_b32 s15, 0xbfd87de2
	;; [unrolled: 1-line block ×6, first 2 shown]
	v_fma_f64 v[44:45], v[38:39], s[2:3], v[10:11]
	v_fma_f64 v[46:47], v[36:37], s[2:3], v[20:21]
	;; [unrolled: 1-line block ×8, first 2 shown]
	v_fma_f64 v[24:25], v[56:57], 2.0, -v[65:66]
	v_fma_f64 v[26:27], v[58:59], 2.0, -v[71:72]
	v_fma_f64 v[36:37], v[36:37], s[2:3], v[44:45]
	v_fma_f64 v[38:39], v[38:39], s[4:5], v[46:47]
	;; [unrolled: 1-line block ×10, first 2 shown]
	v_add_f64 v[24:25], v[6:7], -v[24:25]
	v_add_f64 v[26:27], v[12:13], -v[26:27]
	;; [unrolled: 1-line block ×3, first 2 shown]
	v_add_f64 v[42:43], v[18:19], v[65:66]
	v_fma_f64 v[48:49], v[75:76], s[10:11], v[28:29]
	v_fma_f64 v[50:51], v[73:74], s[18:19], v[30:31]
	;; [unrolled: 1-line block ×4, first 2 shown]
	v_fma_f64 v[28:29], v[67:68], 2.0, -v[56:57]
	v_fma_f64 v[30:31], v[69:70], 2.0, -v[58:59]
	s_barrier
	s_and_saveexec_b64 s[2:3], vcc
	s_cbranch_execz .LBB0_7
; %bb.6:
	v_fma_f64 v[79:80], v[12:13], 2.0, -v[26:27]
	v_fma_f64 v[77:78], v[6:7], 2.0, -v[24:25]
	;; [unrolled: 1-line block ×14, first 2 shown]
	v_add_lshl_u32 v0, v92, v89, 4
	ds_write_b128 v0, v[77:80]
	ds_write_b128 v0, v[73:76] offset:16
	ds_write_b128 v0, v[69:72] offset:32
	;; [unrolled: 1-line block ×15, first 2 shown]
.LBB0_7:
	s_or_b64 exec, exec, s[2:3]
	v_mul_u32_u24_e32 v0, 6, v91
	v_lshlrev_b32_e32 v60, 4, v0
	s_load_dwordx4 s[0:3], s[0:1], 0x0
	s_waitcnt lgkmcnt(0)
	s_barrier
	global_load_dwordx4 v[12:15], v60, s[8:9]
	global_load_dwordx4 v[8:11], v60, s[8:9] offset:16
	global_load_dwordx4 v[4:7], v60, s[8:9] offset:32
	;; [unrolled: 1-line block ×5, first 2 shown]
	v_lshlrev_b32_e32 v94, 4, v64
	ds_read_b128 v[60:63], v94
	ds_read_b128 v[64:67], v94 offset:256
	ds_read_b128 v[68:71], v94 offset:512
	;; [unrolled: 1-line block ×6, first 2 shown]
	s_mov_b32 s8, 0x37e14327
	s_mov_b32 s4, 0x36b3c0b5
	;; [unrolled: 1-line block ×16, first 2 shown]
	v_lshl_add_u32 v93, v91, 4, v93
	s_waitcnt vmcnt(5) lgkmcnt(5)
	v_mul_f64 v[95:96], v[66:67], v[14:15]
	v_mul_f64 v[97:98], v[64:65], v[14:15]
	s_waitcnt vmcnt(4) lgkmcnt(4)
	v_mul_f64 v[99:100], v[70:71], v[10:11]
	v_mul_f64 v[101:102], v[68:69], v[10:11]
	;; [unrolled: 3-line block ×3, first 2 shown]
	s_waitcnt vmcnt(0)
	v_mul_f64 v[115:116], v[82:83], v[22:23]
	v_mul_f64 v[117:118], v[80:81], v[22:23]
	;; [unrolled: 1-line block ×6, first 2 shown]
	v_fma_f64 v[64:65], v[64:65], v[12:13], -v[95:96]
	v_fma_f64 v[66:67], v[66:67], v[12:13], v[97:98]
	v_fma_f64 v[68:69], v[68:69], v[8:9], -v[99:100]
	v_fma_f64 v[70:71], v[70:71], v[8:9], v[101:102]
	;; [unrolled: 2-line block ×6, first 2 shown]
	v_add_f64 v[95:96], v[64:65], v[84:85]
	v_add_f64 v[97:98], v[66:67], v[86:87]
	v_add_f64 v[64:65], v[64:65], -v[84:85]
	v_add_f64 v[66:67], v[66:67], -v[86:87]
	v_add_f64 v[84:85], v[68:69], v[80:81]
	v_add_f64 v[86:87], v[70:71], v[82:83]
	v_add_f64 v[68:69], v[68:69], -v[80:81]
	v_add_f64 v[70:71], v[70:71], -v[82:83]
	;; [unrolled: 4-line block ×4, first 2 shown]
	v_add_f64 v[95:96], v[95:96], -v[80:81]
	v_add_f64 v[97:98], v[97:98], -v[82:83]
	;; [unrolled: 1-line block ×4, first 2 shown]
	v_add_f64 v[103:104], v[72:73], v[68:69]
	v_add_f64 v[105:106], v[74:75], v[70:71]
	v_add_f64 v[107:108], v[72:73], -v[68:69]
	v_add_f64 v[109:110], v[74:75], -v[70:71]
	;; [unrolled: 1-line block ×4, first 2 shown]
	v_add_f64 v[76:77], v[80:81], v[76:77]
	v_add_f64 v[78:79], v[82:83], v[78:79]
	v_add_f64 v[72:73], v[64:65], -v[72:73]
	v_add_f64 v[74:75], v[66:67], -v[74:75]
	v_add_f64 v[64:65], v[103:104], v[64:65]
	v_add_f64 v[66:67], v[105:106], v[66:67]
	v_mul_f64 v[80:81], v[95:96], s[8:9]
	v_mul_f64 v[82:83], v[97:98], s[8:9]
	;; [unrolled: 1-line block ×8, first 2 shown]
	v_add_f64 v[60:61], v[60:61], v[76:77]
	v_add_f64 v[62:63], v[62:63], v[78:79]
	v_fma_f64 v[95:96], v[99:100], s[18:19], -v[95:96]
	v_fma_f64 v[97:98], v[101:102], s[18:19], -v[97:98]
	s_mov_b32 s19, 0xbfe77f67
	v_fma_f64 v[111:112], v[72:73], s[20:21], v[103:104]
	v_fma_f64 v[113:114], v[74:75], s[20:21], v[105:106]
	s_mov_b32 s21, 0xbfd5d0dc
	v_fma_f64 v[84:85], v[84:85], s[4:5], v[80:81]
	v_fma_f64 v[86:87], v[86:87], s[4:5], v[82:83]
	v_fma_f64 v[68:69], v[68:69], s[10:11], -v[103:104]
	v_fma_f64 v[70:71], v[70:71], s[10:11], -v[105:106]
	;; [unrolled: 1-line block ×6, first 2 shown]
	v_fma_f64 v[76:77], v[76:77], s[14:15], v[60:61]
	v_fma_f64 v[78:79], v[78:79], s[14:15], v[62:63]
	;; [unrolled: 1-line block ×8, first 2 shown]
	v_add_f64 v[111:112], v[84:85], v[76:77]
	v_add_f64 v[113:114], v[86:87], v[78:79]
	;; [unrolled: 1-line block ×7, first 2 shown]
	v_add_f64 v[70:71], v[113:114], -v[99:100]
	v_add_f64 v[64:65], v[109:110], v[80:81]
	v_add_f64 v[66:67], v[82:83], -v[107:108]
	v_add_f64 v[76:77], v[72:73], -v[105:106]
	v_add_f64 v[78:79], v[103:104], v[74:75]
	v_add_f64 v[72:73], v[105:106], v[72:73]
	v_add_f64 v[74:75], v[74:75], -v[103:104]
	v_add_f64 v[84:85], v[80:81], -v[109:110]
	v_add_f64 v[86:87], v[107:108], v[82:83]
	v_add_f64 v[80:81], v[111:112], -v[101:102]
	v_add_f64 v[82:83], v[99:100], v[113:114]
	ds_write_b128 v94, v[60:63]
	ds_write_b128 v93, v[68:71] offset:256
	ds_write_b128 v93, v[64:67] offset:512
	;; [unrolled: 1-line block ×6, first 2 shown]
	s_waitcnt lgkmcnt(0)
	s_barrier
	s_and_saveexec_b64 s[4:5], vcc
	s_cbranch_execz .LBB0_9
; %bb.8:
	global_load_dwordx4 v[99:102], v89, s[6:7] offset:1792
	ds_read_b128 v[95:98], v94
	s_add_u32 s8, s6, 0x700
	s_addc_u32 s9, s7, 0
	s_waitcnt vmcnt(0) lgkmcnt(0)
	v_mul_f64 v[103:104], v[97:98], v[101:102]
	v_fma_f64 v[103:104], v[95:96], v[99:100], -v[103:104]
	v_mul_f64 v[95:96], v[95:96], v[101:102]
	v_fma_f64 v[105:106], v[97:98], v[99:100], v[95:96]
	global_load_dwordx4 v[99:102], v89, s[8:9] offset:112
	ds_write_b128 v94, v[103:106]
	ds_read_b128 v[95:98], v93 offset:112
	s_waitcnt vmcnt(0) lgkmcnt(0)
	v_mul_f64 v[103:104], v[97:98], v[101:102]
	v_fma_f64 v[103:104], v[95:96], v[99:100], -v[103:104]
	v_mul_f64 v[95:96], v[95:96], v[101:102]
	v_fma_f64 v[105:106], v[97:98], v[99:100], v[95:96]
	global_load_dwordx4 v[99:102], v89, s[8:9] offset:224
	ds_read_b128 v[95:98], v93 offset:224
	ds_write_b128 v93, v[103:106] offset:112
	s_waitcnt vmcnt(0) lgkmcnt(1)
	v_mul_f64 v[103:104], v[97:98], v[101:102]
	v_fma_f64 v[103:104], v[95:96], v[99:100], -v[103:104]
	v_mul_f64 v[95:96], v[95:96], v[101:102]
	v_fma_f64 v[105:106], v[97:98], v[99:100], v[95:96]
	global_load_dwordx4 v[99:102], v89, s[8:9] offset:336
	ds_read_b128 v[95:98], v93 offset:336
	ds_write_b128 v93, v[103:106] offset:224
	;; [unrolled: 8-line block ×14, first 2 shown]
	s_waitcnt vmcnt(0) lgkmcnt(1)
	v_mul_f64 v[103:104], v[97:98], v[101:102]
	v_fma_f64 v[103:104], v[95:96], v[99:100], -v[103:104]
	v_mul_f64 v[95:96], v[95:96], v[101:102]
	v_fma_f64 v[105:106], v[97:98], v[99:100], v[95:96]
	ds_write_b128 v93, v[103:106] offset:1680
.LBB0_9:
	s_or_b64 exec, exec, s[4:5]
	s_waitcnt lgkmcnt(0)
	s_barrier
	s_and_saveexec_b64 s[4:5], vcc
	s_cbranch_execz .LBB0_11
; %bb.10:
	ds_read_b128 v[60:63], v94
	ds_read_b128 v[68:71], v93 offset:112
	ds_read_b128 v[64:67], v93 offset:224
	;; [unrolled: 1-line block ×15, first 2 shown]
.LBB0_11:
	s_or_b64 exec, exec, s[4:5]
	s_waitcnt lgkmcnt(0)
	s_barrier
	s_and_saveexec_b64 s[4:5], vcc
	s_cbranch_execz .LBB0_13
; %bb.12:
	v_add_f64 v[38:39], v[66:67], -v[38:39]
	v_add_f64 v[52:53], v[80:81], -v[52:53]
	;; [unrolled: 1-line block ×20, first 2 shown]
	s_mov_b32 s8, 0x667f3bcd
	s_mov_b32 s9, 0x3fe6a09e
	v_fma_f64 v[26:27], v[97:98], s[8:9], v[99:100]
	v_add_f64 v[107:108], v[54:55], v[36:37]
	v_add_f64 v[109:110], v[58:59], v[44:45]
	;; [unrolled: 1-line block ×3, first 2 shown]
	v_fma_f64 v[62:63], v[62:63], 2.0, -v[95:96]
	v_add_f64 v[119:120], v[24:25], v[42:43]
	v_fma_f64 v[42:43], v[74:75], 2.0, -v[42:43]
	v_fma_f64 v[64:65], v[64:65], 2.0, -v[36:37]
	v_fma_f64 v[52:53], v[80:81], 2.0, -v[52:53]
	v_fma_f64 v[70:71], v[70:71], 2.0, -v[34:35]
	v_fma_f64 v[50:51], v[86:87], 2.0, -v[50:51]
	v_fma_f64 v[74:75], v[76:77], 2.0, -v[44:45]
	v_fma_f64 v[28:29], v[28:29], 2.0, -v[56:57]
	v_fma_f64 v[30:31], v[30:31], 2.0, -v[58:59]
	v_fma_f64 v[58:59], v[68:69], 2.0, -v[101:102]
	v_fma_f64 v[48:49], v[84:85], 2.0, -v[48:49]
	v_fma_f64 v[84:85], v[95:96], 2.0, -v[99:100]
	v_fma_f64 v[95:96], v[34:35], 2.0, -v[105:106]
	v_fma_f64 v[34:35], v[46:47], 2.0, -v[103:104]
	v_fma_f64 v[86:87], v[38:39], 2.0, -v[97:98]
	s_mov_b32 s11, 0xbfe6a09e
	s_mov_b32 s10, s8
	v_fma_f64 v[32:33], v[103:104], s[8:9], v[105:106]
	v_fma_f64 v[113:114], v[107:108], s[10:11], v[26:27]
	;; [unrolled: 1-line block ×3, first 2 shown]
	v_add_f64 v[80:81], v[62:63], -v[42:43]
	v_add_f64 v[42:43], v[64:65], -v[52:53]
	;; [unrolled: 1-line block ×4, first 2 shown]
	v_fma_f64 v[52:53], v[78:79], 2.0, -v[46:47]
	v_add_f64 v[46:47], v[58:59], -v[48:49]
	v_fma_f64 v[38:39], v[66:67], 2.0, -v[38:39]
	v_fma_f64 v[48:49], v[82:83], 2.0, -v[54:55]
	;; [unrolled: 1-line block ×5, first 2 shown]
	v_fma_f64 v[66:67], v[34:35], s[10:11], v[95:96]
	v_fma_f64 v[44:45], v[44:45], 2.0, -v[109:110]
	v_fma_f64 v[72:73], v[101:102], 2.0, -v[111:112]
	;; [unrolled: 1-line block ×3, first 2 shown]
	v_fma_f64 v[60:61], v[86:87], s[10:11], v[84:85]
	v_fma_f64 v[115:116], v[109:110], s[10:11], v[32:33]
	;; [unrolled: 1-line block ×4, first 2 shown]
	v_add_f64 v[68:69], v[80:81], -v[42:43]
	v_add_f64 v[78:79], v[50:51], -v[28:29]
	;; [unrolled: 1-line block ×5, first 2 shown]
	v_fma_f64 v[66:67], v[44:45], s[10:11], v[66:67]
	v_fma_f64 v[40:41], v[44:45], s[10:11], v[72:73]
	;; [unrolled: 1-line block ×4, first 2 shown]
	s_mov_b32 s16, 0xa6aea964
	v_fma_f64 v[76:77], v[97:98], s[8:9], v[32:33]
	v_fma_f64 v[97:98], v[78:79], s[8:9], v[68:69]
	v_add_f64 v[101:102], v[30:31], v[46:47]
	v_fma_f64 v[62:63], v[62:63], 2.0, -v[80:81]
	v_fma_f64 v[38:39], v[38:39], 2.0, -v[48:49]
	;; [unrolled: 1-line block ×3, first 2 shown]
	v_add_f64 v[107:108], v[103:104], v[48:49]
	v_fma_f64 v[74:75], v[34:35], s[8:9], v[40:41]
	v_fma_f64 v[86:87], v[86:87], s[8:9], v[44:45]
	s_mov_b32 s17, 0xbfd87de2
	s_mov_b32 s19, 0x3fd87de2
	;; [unrolled: 1-line block ×3, first 2 shown]
	v_fma_f64 v[48:49], v[66:67], s[18:19], v[60:61]
	s_mov_b32 s14, 0xcf328d46
	s_mov_b32 s15, 0x3fed906b
	v_fma_f64 v[58:59], v[58:59], 2.0, -v[46:47]
	v_fma_f64 v[54:55], v[54:55], 2.0, -v[103:104]
	;; [unrolled: 1-line block ×5, first 2 shown]
	v_fma_f64 v[56:57], v[117:118], s[14:15], v[76:77]
	v_fma_f64 v[36:37], v[101:102], s[10:11], v[97:98]
	v_add_f64 v[97:98], v[62:63], -v[38:39]
	v_fma_f64 v[38:39], v[101:102], s[8:9], v[107:108]
	v_fma_f64 v[42:43], v[74:75], s[18:19], v[86:87]
	s_mov_b32 s21, 0xbfed906b
	s_mov_b32 s20, s14
	v_fma_f64 v[26:27], v[115:116], s[14:15], v[113:114]
	v_fma_f64 v[40:41], v[74:75], s[20:21], v[48:49]
	v_add_f64 v[28:29], v[58:59], -v[28:29]
	v_add_f64 v[109:110], v[54:55], -v[34:35]
	;; [unrolled: 1-line block ×3, first 2 shown]
	v_fma_f64 v[80:81], v[80:81], 2.0, -v[68:69]
	v_fma_f64 v[50:51], v[50:51], 2.0, -v[78:79]
	v_fma_f64 v[24:25], v[115:116], s[18:19], v[56:57]
	v_fma_f64 v[48:49], v[68:69], 2.0, -v[36:37]
	v_fma_f64 v[34:35], v[78:79], s[8:9], v[38:39]
	v_fma_f64 v[38:39], v[66:67], s[14:15], v[42:43]
	v_fma_f64 v[78:79], v[84:85], 2.0, -v[60:61]
	v_fma_f64 v[66:67], v[95:96], 2.0, -v[66:67]
	;; [unrolled: 1-line block ×6, first 2 shown]
	v_fma_f64 v[26:27], v[117:118], s[16:17], v[26:27]
	v_fma_f64 v[99:100], v[99:100], 2.0, -v[113:114]
	v_fma_f64 v[105:106], v[105:106], 2.0, -v[115:116]
	;; [unrolled: 1-line block ×5, first 2 shown]
	v_add_f64 v[44:45], v[97:98], -v[28:29]
	v_fma_f64 v[72:73], v[50:51], s[10:11], v[80:81]
	v_fma_f64 v[82:83], v[62:63], 2.0, -v[97:98]
	v_fma_f64 v[62:63], v[64:65], 2.0, -v[70:71]
	;; [unrolled: 1-line block ×5, first 2 shown]
	v_fma_f64 v[76:77], v[66:67], s[20:21], v[78:79]
	v_fma_f64 v[58:59], v[68:69], s[20:21], v[74:75]
	;; [unrolled: 1-line block ×3, first 2 shown]
	v_fma_f64 v[32:33], v[113:114], 2.0, -v[26:27]
	v_fma_f64 v[113:114], v[105:106], s[16:17], v[99:100]
	v_fma_f64 v[95:96], v[60:61], s[16:17], v[111:112]
	v_add_f64 v[42:43], v[109:110], v[70:71]
	v_fma_f64 v[64:65], v[46:47], s[10:11], v[72:73]
	v_add_f64 v[72:73], v[82:83], -v[62:63]
	v_add_f64 v[70:71], v[54:55], -v[28:29]
	v_fma_f64 v[68:69], v[68:69], s[16:17], v[76:77]
	v_fma_f64 v[66:67], v[66:67], s[18:19], v[58:59]
	;; [unrolled: 1-line block ×5, first 2 shown]
	v_fma_f64 v[56:57], v[97:98], 2.0, -v[44:45]
	v_fma_f64 v[97:98], v[82:83], 2.0, -v[72:73]
	;; [unrolled: 1-line block ×12, first 2 shown]
	v_add_lshl_u32 v28, v92, v89, 4
	ds_write_b128 v28, v[95:98]
	ds_write_b128 v28, v[82:85] offset:16
	ds_write_b128 v28, v[78:81] offset:32
	;; [unrolled: 1-line block ×15, first 2 shown]
.LBB0_13:
	s_or_b64 exec, exec, s[4:5]
	s_waitcnt lgkmcnt(0)
	s_barrier
	ds_read_b128 v[24:27], v94 offset:256
	ds_read_b128 v[28:31], v94 offset:512
	;; [unrolled: 1-line block ×3, first 2 shown]
	ds_read_b128 v[36:39], v94
	ds_read_b128 v[40:43], v94 offset:1024
	ds_read_b128 v[44:47], v94 offset:1280
	;; [unrolled: 1-line block ×3, first 2 shown]
	s_mov_b32 s4, 0x37e14327
	s_waitcnt lgkmcnt(6)
	v_mul_f64 v[52:53], v[14:15], v[26:27]
	v_mul_f64 v[14:15], v[14:15], v[24:25]
	s_waitcnt lgkmcnt(5)
	v_mul_f64 v[54:55], v[10:11], v[30:31]
	v_mul_f64 v[10:11], v[10:11], v[28:29]
	s_mov_b32 s5, 0x3fe948f6
	s_mov_b32 s8, 0xe976ee23
	;; [unrolled: 1-line block ×4, first 2 shown]
	v_fma_f64 v[24:25], v[12:13], v[24:25], v[52:53]
	v_fma_f64 v[12:13], v[12:13], v[26:27], -v[14:15]
	v_fma_f64 v[14:15], v[8:9], v[28:29], v[54:55]
	v_fma_f64 v[8:9], v[8:9], v[30:31], -v[10:11]
	s_waitcnt lgkmcnt(0)
	v_mul_f64 v[10:11], v[18:19], v[50:51]
	v_mul_f64 v[18:19], v[18:19], v[48:49]
	;; [unrolled: 1-line block ×8, first 2 shown]
	v_fma_f64 v[10:11], v[16:17], v[48:49], v[10:11]
	v_fma_f64 v[16:17], v[16:17], v[50:51], -v[18:19]
	v_fma_f64 v[18:19], v[4:5], v[32:33], v[26:27]
	v_fma_f64 v[4:5], v[4:5], v[34:35], -v[6:7]
	;; [unrolled: 2-line block ×4, first 2 shown]
	v_add_f64 v[2:3], v[24:25], v[10:11]
	v_add_f64 v[26:27], v[12:13], v[16:17]
	v_add_f64 v[10:11], v[24:25], -v[10:11]
	v_add_f64 v[12:13], v[12:13], -v[16:17]
	v_add_f64 v[16:17], v[14:15], v[6:7]
	v_add_f64 v[24:25], v[8:9], v[20:21]
	v_add_f64 v[6:7], v[14:15], -v[6:7]
	v_add_f64 v[8:9], v[8:9], -v[20:21]
	;; [unrolled: 4-line block ×4, first 2 shown]
	v_add_f64 v[32:33], v[2:3], -v[14:15]
	v_add_f64 v[26:27], v[26:27], -v[20:21]
	;; [unrolled: 1-line block ×4, first 2 shown]
	v_add_f64 v[34:35], v[0:1], v[8:9]
	v_add_f64 v[2:3], v[18:19], v[6:7]
	v_add_f64 v[40:41], v[18:19], -v[6:7]
	v_add_f64 v[42:43], v[0:1], -v[8:9]
	v_add_f64 v[4:5], v[14:15], v[4:5]
	v_add_f64 v[14:15], v[20:21], v[22:23]
	v_add_f64 v[6:7], v[6:7], -v[10:11]
	v_add_f64 v[8:9], v[8:9], -v[12:13]
	v_mul_f64 v[22:23], v[32:33], s[4:5]
	v_mul_f64 v[26:27], v[26:27], s[4:5]
	s_mov_b32 s4, 0x36b3c0b5
	s_mov_b32 s5, 0x3fac98ee
	v_add_f64 v[20:21], v[12:13], -v[0:1]
	v_add_f64 v[12:13], v[34:35], v[12:13]
	v_mul_f64 v[32:33], v[16:17], s[4:5]
	v_mul_f64 v[34:35], v[24:25], s[4:5]
	v_add_f64 v[18:19], v[10:11], -v[18:19]
	v_add_f64 v[10:11], v[2:3], v[10:11]
	v_add_f64 v[0:1], v[36:37], v[4:5]
	;; [unrolled: 1-line block ×3, first 2 shown]
	v_mul_f64 v[36:37], v[40:41], s[8:9]
	v_mul_f64 v[38:39], v[42:43], s[8:9]
	s_mov_b32 s8, 0x429ad128
	s_mov_b32 s9, 0xbfebfeb5
	v_mul_f64 v[40:41], v[6:7], s[8:9]
	v_mul_f64 v[42:43], v[8:9], s[8:9]
	v_fma_f64 v[16:17], v[16:17], s[4:5], v[22:23]
	v_fma_f64 v[24:25], v[24:25], s[4:5], v[26:27]
	s_mov_b32 s5, 0x3fe77f67
	s_mov_b32 s4, 0x5476071b
	v_fma_f64 v[32:33], v[28:29], s[4:5], -v[32:33]
	v_fma_f64 v[34:35], v[30:31], s[4:5], -v[34:35]
	s_mov_b32 s5, 0xbfe77f67
	s_mov_b32 s11, 0xbff2aaaa
	v_fma_f64 v[22:23], v[28:29], s[4:5], -v[22:23]
	v_fma_f64 v[26:27], v[30:31], s[4:5], -v[26:27]
	s_mov_b32 s5, 0xbfd5d0dc
	s_mov_b32 s4, 0xb247c609
	v_fma_f64 v[4:5], v[4:5], s[10:11], v[0:1]
	v_fma_f64 v[14:15], v[14:15], s[10:11], v[2:3]
	;; [unrolled: 1-line block ×4, first 2 shown]
	s_mov_b32 s5, 0x3fd5d0dc
	v_fma_f64 v[18:19], v[18:19], s[4:5], -v[40:41]
	v_fma_f64 v[20:21], v[20:21], s[4:5], -v[42:43]
	;; [unrolled: 1-line block ×4, first 2 shown]
	s_mov_b32 s4, 0x37c3f68c
	s_mov_b32 s5, 0xbfdc38aa
	v_add_f64 v[36:37], v[16:17], v[4:5]
	v_add_f64 v[38:39], v[24:25], v[14:15]
	v_fma_f64 v[30:31], v[12:13], s[4:5], v[30:31]
	v_fma_f64 v[28:29], v[10:11], s[4:5], v[28:29]
	v_add_f64 v[16:17], v[32:33], v[4:5]
	v_add_f64 v[22:23], v[22:23], v[4:5]
	;; [unrolled: 1-line block ×3, first 2 shown]
	v_fma_f64 v[20:21], v[12:13], s[4:5], v[20:21]
	v_fma_f64 v[32:33], v[10:11], s[4:5], v[18:19]
	v_add_f64 v[24:25], v[34:35], v[14:15]
	v_fma_f64 v[18:19], v[12:13], s[4:5], v[8:9]
	v_fma_f64 v[34:35], v[10:11], s[4:5], v[6:7]
	v_add_f64 v[4:5], v[30:31], v[36:37]
	v_add_f64 v[6:7], v[38:39], -v[28:29]
	v_add_f64 v[8:9], v[20:21], v[22:23]
	v_add_f64 v[10:11], v[26:27], -v[32:33]
	v_add_f64 v[20:21], v[22:23], -v[20:21]
	;; [unrolled: 1-line block ×3, first 2 shown]
	v_add_f64 v[14:15], v[34:35], v[24:25]
	v_add_f64 v[16:17], v[18:19], v[16:17]
	v_add_f64 v[18:19], v[24:25], -v[34:35]
	v_add_f64 v[22:23], v[32:33], v[26:27]
	v_add_f64 v[24:25], v[36:37], -v[30:31]
	v_add_f64 v[26:27], v[28:29], v[38:39]
	ds_write_b128 v94, v[0:3]
	ds_write_b128 v93, v[4:7] offset:256
	ds_write_b128 v93, v[8:11] offset:512
	;; [unrolled: 1-line block ×6, first 2 shown]
	s_waitcnt lgkmcnt(0)
	s_barrier
	s_and_b64 exec, exec, vcc
	s_cbranch_execz .LBB0_15
; %bb.14:
	global_load_dwordx4 v[0:3], v89, s[6:7]
	global_load_dwordx4 v[4:7], v89, s[6:7] offset:112
	global_load_dwordx4 v[8:11], v89, s[6:7] offset:224
	;; [unrolled: 1-line block ×6, first 2 shown]
	ds_read_b128 v[28:31], v94
	ds_read_b128 v[32:35], v93 offset:112
	ds_read_b128 v[36:39], v93 offset:224
	;; [unrolled: 1-line block ×7, first 2 shown]
	global_load_dwordx4 v[60:63], v89, s[6:7] offset:784
	global_load_dwordx4 v[64:67], v89, s[6:7] offset:896
	;; [unrolled: 1-line block ×6, first 2 shown]
	v_mad_u64_u32 v[84:85], s[4:5], s2, v88, 0
	v_mad_u64_u32 v[86:87], s[8:9], s0, v91, 0
	v_mov_b32_e32 v92, s13
	s_mul_i32 s8, s1, 0x70
	v_mad_u64_u32 v[94:95], s[10:11], s3, v88, v[85:86]
	v_mad_u64_u32 v[87:88], s[10:11], s1, v91, v[87:88]
	v_mov_b32_e32 v85, v94
	v_lshlrev_b64 v[84:85], 4, v[84:85]
	v_lshlrev_b64 v[86:87], 4, v[86:87]
	v_add_co_u32_e32 v111, vcc, s12, v84
	v_addc_co_u32_e32 v112, vcc, v92, v85, vcc
	s_mul_hi_u32 s9, s0, 0x70
	v_add_co_u32_e32 v84, vcc, v111, v86
	s_mul_i32 s2, s0, 0x70
	s_add_i32 s8, s9, s8
	v_addc_co_u32_e32 v85, vcc, v112, v87, vcc
	v_mov_b32_e32 v96, s8
	v_add_co_u32_e32 v86, vcc, s2, v84
	v_addc_co_u32_e32 v87, vcc, v85, v96, vcc
	v_mov_b32_e32 v97, s8
	v_add_co_u32_e32 v91, vcc, s2, v86
	v_addc_co_u32_e32 v92, vcc, v87, v97, vcc
	s_mov_b32 s4, 0x92492492
	s_mov_b32 s5, 0x3f824924
	v_mov_b32_e32 v88, s8
	v_add_co_u32_e32 v94, vcc, s2, v91
	v_addc_co_u32_e32 v95, vcc, v92, v88, vcc
	v_mov_b32_e32 v110, s8
	s_waitcnt vmcnt(12) lgkmcnt(7)
	v_mul_f64 v[96:97], v[30:31], v[2:3]
	v_mul_f64 v[2:3], v[28:29], v[2:3]
	s_waitcnt vmcnt(11) lgkmcnt(6)
	v_mul_f64 v[98:99], v[34:35], v[6:7]
	v_mul_f64 v[6:7], v[32:33], v[6:7]
	;; [unrolled: 3-line block ×4, first 2 shown]
	v_fma_f64 v[28:29], v[28:29], v[0:1], v[96:97]
	v_fma_f64 v[2:3], v[0:1], v[30:31], -v[2:3]
	v_fma_f64 v[30:31], v[32:33], v[4:5], v[98:99]
	v_fma_f64 v[6:7], v[4:5], v[34:35], -v[6:7]
	;; [unrolled: 2-line block ×4, first 2 shown]
	s_waitcnt vmcnt(8) lgkmcnt(3)
	v_mul_f64 v[104:105], v[46:47], v[18:19]
	v_mul_f64 v[18:19], v[44:45], v[18:19]
	s_waitcnt vmcnt(7) lgkmcnt(2)
	v_mul_f64 v[106:107], v[50:51], v[22:23]
	v_mul_f64 v[22:23], v[48:49], v[22:23]
	;; [unrolled: 1-line block ×10, first 2 shown]
	v_fma_f64 v[36:37], v[44:45], v[16:17], v[104:105]
	v_fma_f64 v[18:19], v[16:17], v[46:47], -v[18:19]
	v_fma_f64 v[28:29], v[48:49], v[20:21], v[106:107]
	v_fma_f64 v[20:21], v[20:21], v[50:51], -v[22:23]
	global_store_dwordx4 v[84:85], v[0:3], off
	global_store_dwordx4 v[86:87], v[4:7], off
	;; [unrolled: 1-line block ×4, first 2 shown]
	s_waitcnt vmcnt(10) lgkmcnt(1)
	v_mul_f64 v[4:5], v[52:53], v[26:27]
	v_mul_f64 v[108:109], v[54:55], v[26:27]
	v_add_co_u32_e32 v6, vcc, s2, v94
	v_mul_f64 v[16:17], v[36:37], s[4:5]
	v_mul_f64 v[18:19], v[18:19], s[4:5]
	;; [unrolled: 1-line block ×4, first 2 shown]
	v_fma_f64 v[4:5], v[24:25], v[54:55], -v[4:5]
	v_addc_co_u32_e32 v7, vcc, v95, v110, vcc
	v_fma_f64 v[8:9], v[52:53], v[24:25], v[108:109]
	s_waitcnt vmcnt(9) lgkmcnt(0)
	v_mul_f64 v[10:11], v[58:59], v[62:63]
	v_mul_f64 v[12:13], v[56:57], v[62:63]
	v_mov_b32_e32 v15, s8
	v_add_co_u32_e32 v14, vcc, s2, v6
	v_addc_co_u32_e32 v15, vcc, v7, v15, vcc
	global_store_dwordx4 v[6:7], v[16:19], off
	global_store_dwordx4 v[14:15], v[0:3], off
	v_fma_f64 v[16:17], v[56:57], v[60:61], v[10:11]
	v_mul_f64 v[2:3], v[4:5], s[4:5]
	ds_read_b128 v[4:7], v93 offset:896
	v_mul_f64 v[0:1], v[8:9], s[4:5]
	ds_read_b128 v[8:11], v93 offset:1008
	v_fma_f64 v[12:13], v[60:61], v[58:59], -v[12:13]
	v_mov_b32_e32 v22, s8
	s_waitcnt vmcnt(10) lgkmcnt(1)
	v_mul_f64 v[18:19], v[6:7], v[66:67]
	v_mul_f64 v[20:21], v[4:5], v[66:67]
	v_add_co_u32_e32 v14, vcc, s2, v14
	v_addc_co_u32_e32 v15, vcc, v15, v22, vcc
	global_store_dwordx4 v[14:15], v[0:3], off
	v_add_co_u32_e32 v14, vcc, s2, v14
	v_mul_f64 v[0:1], v[16:17], s[4:5]
	v_mul_f64 v[2:3], v[12:13], s[4:5]
	v_fma_f64 v[4:5], v[4:5], v[64:65], v[18:19]
	v_fma_f64 v[6:7], v[64:65], v[6:7], -v[20:21]
	v_mad_u64_u32 v[12:13], s[10:11], s0, v90, 0
	v_mov_b32_e32 v16, s8
	v_addc_co_u32_e32 v15, vcc, v15, v16, vcc
	v_mad_u64_u32 v[16:17], s[10:11], s1, v90, v[13:14]
	global_store_dwordx4 v[14:15], v[0:3], off
	v_mov_b32_e32 v18, 0xe0
	v_mul_f64 v[0:1], v[4:5], s[4:5]
	v_mul_f64 v[2:3], v[6:7], s[4:5]
	v_mov_b32_e32 v13, v16
	v_lshlrev_b64 v[4:5], 4, v[12:13]
	s_waitcnt vmcnt(11) lgkmcnt(0)
	v_mul_f64 v[6:7], v[10:11], v[70:71]
	v_mul_f64 v[12:13], v[8:9], v[70:71]
	v_add_co_u32_e32 v4, vcc, v111, v4
	v_addc_co_u32_e32 v5, vcc, v112, v5, vcc
	global_store_dwordx4 v[4:5], v[0:3], off
	ds_read_b128 v[0:3], v93 offset:1120
	v_fma_f64 v[8:9], v[8:9], v[68:69], v[6:7]
	ds_read_b128 v[4:7], v93 offset:1232
	v_fma_f64 v[10:11], v[68:69], v[10:11], -v[12:13]
	v_mad_u64_u32 v[18:19], s[10:11], s0, v18, v[14:15]
	s_waitcnt vmcnt(11) lgkmcnt(1)
	v_mul_f64 v[12:13], v[2:3], v[74:75]
	v_mul_f64 v[16:17], v[0:1], v[74:75]
	s_waitcnt vmcnt(10) lgkmcnt(0)
	v_mul_f64 v[22:23], v[6:7], v[78:79]
	v_mul_f64 v[24:25], v[4:5], v[78:79]
	;; [unrolled: 1-line block ×4, first 2 shown]
	s_mul_i32 s0, s1, 0xe0
	v_add_u32_e32 v19, s0, v19
	v_fma_f64 v[20:21], v[0:1], v[72:73], v[12:13]
	ds_read_b128 v[12:15], v93 offset:1344
	v_fma_f64 v[16:17], v[72:73], v[2:3], -v[16:17]
	ds_read_b128 v[0:3], v93 offset:1456
	v_fma_f64 v[4:5], v[4:5], v[76:77], v[22:23]
	v_fma_f64 v[6:7], v[76:77], v[6:7], -v[24:25]
	s_waitcnt vmcnt(9) lgkmcnt(1)
	v_mul_f64 v[26:27], v[14:15], v[82:83]
	v_mul_f64 v[28:29], v[12:13], v[82:83]
	global_store_dwordx4 v[18:19], v[8:11], off
	v_mul_f64 v[4:5], v[4:5], s[4:5]
	v_mul_f64 v[8:9], v[20:21], s[4:5]
	;; [unrolled: 1-line block ×3, first 2 shown]
	v_fma_f64 v[12:13], v[12:13], v[80:81], v[26:27]
	v_fma_f64 v[14:15], v[80:81], v[14:15], -v[28:29]
	v_mov_b32_e32 v17, s8
	v_add_co_u32_e32 v16, vcc, s2, v18
	v_mul_f64 v[6:7], v[6:7], s[4:5]
	v_addc_co_u32_e32 v17, vcc, v19, v17, vcc
	global_store_dwordx4 v[16:17], v[8:11], off
	v_mov_b32_e32 v18, s8
	v_mul_f64 v[8:9], v[12:13], s[4:5]
	v_mul_f64 v[10:11], v[14:15], s[4:5]
	v_add_co_u32_e32 v12, vcc, s2, v16
	v_addc_co_u32_e32 v13, vcc, v17, v18, vcc
	global_store_dwordx4 v[12:13], v[4:7], off
	v_add_co_u32_e32 v12, vcc, s2, v12
	v_mov_b32_e32 v4, s8
	v_addc_co_u32_e32 v13, vcc, v13, v4, vcc
	global_store_dwordx4 v[12:13], v[8:11], off
	global_load_dwordx4 v[4:7], v89, s[6:7] offset:1456
	v_add_co_u32_e32 v12, vcc, s2, v12
	s_waitcnt vmcnt(0) lgkmcnt(0)
	v_mul_f64 v[8:9], v[2:3], v[6:7]
	v_mul_f64 v[6:7], v[0:1], v[6:7]
	v_fma_f64 v[0:1], v[0:1], v[4:5], v[8:9]
	v_fma_f64 v[2:3], v[4:5], v[2:3], -v[6:7]
	v_mov_b32_e32 v4, s8
	v_addc_co_u32_e32 v13, vcc, v13, v4, vcc
	v_mul_f64 v[0:1], v[0:1], s[4:5]
	v_mul_f64 v[2:3], v[2:3], s[4:5]
	global_store_dwordx4 v[12:13], v[0:3], off
	global_load_dwordx4 v[0:3], v89, s[6:7] offset:1568
	ds_read_b128 v[4:7], v93 offset:1568
	ds_read_b128 v[8:11], v93 offset:1680
	s_waitcnt vmcnt(0) lgkmcnt(1)
	v_mul_f64 v[14:15], v[6:7], v[2:3]
	v_mul_f64 v[2:3], v[4:5], v[2:3]
	v_fma_f64 v[4:5], v[4:5], v[0:1], v[14:15]
	v_fma_f64 v[2:3], v[0:1], v[6:7], -v[2:3]
	v_mul_f64 v[0:1], v[4:5], s[4:5]
	v_mul_f64 v[2:3], v[2:3], s[4:5]
	v_mov_b32_e32 v5, s8
	v_add_co_u32_e32 v4, vcc, s2, v12
	v_addc_co_u32_e32 v5, vcc, v13, v5, vcc
	global_store_dwordx4 v[4:5], v[0:3], off
	global_load_dwordx4 v[0:3], v89, s[6:7] offset:1680
	v_add_co_u32_e32 v4, vcc, s2, v4
	s_waitcnt vmcnt(0) lgkmcnt(0)
	v_mul_f64 v[6:7], v[10:11], v[2:3]
	v_mul_f64 v[2:3], v[8:9], v[2:3]
	v_fma_f64 v[6:7], v[8:9], v[0:1], v[6:7]
	v_fma_f64 v[2:3], v[0:1], v[10:11], -v[2:3]
	v_mul_f64 v[0:1], v[6:7], s[4:5]
	v_mul_f64 v[2:3], v[2:3], s[4:5]
	v_mov_b32_e32 v6, s8
	v_addc_co_u32_e32 v5, vcc, v5, v6, vcc
	global_store_dwordx4 v[4:5], v[0:3], off
.LBB0_15:
	s_endpgm
	.section	.rodata,"a",@progbits
	.p2align	6, 0x0
	.amdhsa_kernel bluestein_single_fwd_len112_dim1_dp_op_CI_CI
		.amdhsa_group_segment_fixed_size 28672
		.amdhsa_private_segment_fixed_size 0
		.amdhsa_kernarg_size 104
		.amdhsa_user_sgpr_count 6
		.amdhsa_user_sgpr_private_segment_buffer 1
		.amdhsa_user_sgpr_dispatch_ptr 0
		.amdhsa_user_sgpr_queue_ptr 0
		.amdhsa_user_sgpr_kernarg_segment_ptr 1
		.amdhsa_user_sgpr_dispatch_id 0
		.amdhsa_user_sgpr_flat_scratch_init 0
		.amdhsa_user_sgpr_private_segment_size 0
		.amdhsa_uses_dynamic_stack 0
		.amdhsa_system_sgpr_private_segment_wavefront_offset 0
		.amdhsa_system_sgpr_workgroup_id_x 1
		.amdhsa_system_sgpr_workgroup_id_y 0
		.amdhsa_system_sgpr_workgroup_id_z 0
		.amdhsa_system_sgpr_workgroup_info 0
		.amdhsa_system_vgpr_workitem_id 0
		.amdhsa_next_free_vgpr 121
		.amdhsa_next_free_sgpr 24
		.amdhsa_reserve_vcc 1
		.amdhsa_reserve_flat_scratch 0
		.amdhsa_float_round_mode_32 0
		.amdhsa_float_round_mode_16_64 0
		.amdhsa_float_denorm_mode_32 3
		.amdhsa_float_denorm_mode_16_64 3
		.amdhsa_dx10_clamp 1
		.amdhsa_ieee_mode 1
		.amdhsa_fp16_overflow 0
		.amdhsa_exception_fp_ieee_invalid_op 0
		.amdhsa_exception_fp_denorm_src 0
		.amdhsa_exception_fp_ieee_div_zero 0
		.amdhsa_exception_fp_ieee_overflow 0
		.amdhsa_exception_fp_ieee_underflow 0
		.amdhsa_exception_fp_ieee_inexact 0
		.amdhsa_exception_int_div_zero 0
	.end_amdhsa_kernel
	.text
.Lfunc_end0:
	.size	bluestein_single_fwd_len112_dim1_dp_op_CI_CI, .Lfunc_end0-bluestein_single_fwd_len112_dim1_dp_op_CI_CI
                                        ; -- End function
	.section	.AMDGPU.csdata,"",@progbits
; Kernel info:
; codeLenInByte = 9580
; NumSgprs: 28
; NumVgprs: 121
; ScratchSize: 0
; MemoryBound: 0
; FloatMode: 240
; IeeeMode: 1
; LDSByteSize: 28672 bytes/workgroup (compile time only)
; SGPRBlocks: 3
; VGPRBlocks: 30
; NumSGPRsForWavesPerEU: 28
; NumVGPRsForWavesPerEU: 121
; Occupancy: 2
; WaveLimiterHint : 1
; COMPUTE_PGM_RSRC2:SCRATCH_EN: 0
; COMPUTE_PGM_RSRC2:USER_SGPR: 6
; COMPUTE_PGM_RSRC2:TRAP_HANDLER: 0
; COMPUTE_PGM_RSRC2:TGID_X_EN: 1
; COMPUTE_PGM_RSRC2:TGID_Y_EN: 0
; COMPUTE_PGM_RSRC2:TGID_Z_EN: 0
; COMPUTE_PGM_RSRC2:TIDIG_COMP_CNT: 0
	.type	__hip_cuid_6f9c102ed5f9335d,@object ; @__hip_cuid_6f9c102ed5f9335d
	.section	.bss,"aw",@nobits
	.globl	__hip_cuid_6f9c102ed5f9335d
__hip_cuid_6f9c102ed5f9335d:
	.byte	0                               ; 0x0
	.size	__hip_cuid_6f9c102ed5f9335d, 1

	.ident	"AMD clang version 19.0.0git (https://github.com/RadeonOpenCompute/llvm-project roc-6.4.0 25133 c7fe45cf4b819c5991fe208aaa96edf142730f1d)"
	.section	".note.GNU-stack","",@progbits
	.addrsig
	.addrsig_sym __hip_cuid_6f9c102ed5f9335d
	.amdgpu_metadata
---
amdhsa.kernels:
  - .args:
      - .actual_access:  read_only
        .address_space:  global
        .offset:         0
        .size:           8
        .value_kind:     global_buffer
      - .actual_access:  read_only
        .address_space:  global
        .offset:         8
        .size:           8
        .value_kind:     global_buffer
      - .actual_access:  read_only
        .address_space:  global
        .offset:         16
        .size:           8
        .value_kind:     global_buffer
      - .actual_access:  read_only
        .address_space:  global
        .offset:         24
        .size:           8
        .value_kind:     global_buffer
      - .actual_access:  read_only
        .address_space:  global
        .offset:         32
        .size:           8
        .value_kind:     global_buffer
      - .offset:         40
        .size:           8
        .value_kind:     by_value
      - .address_space:  global
        .offset:         48
        .size:           8
        .value_kind:     global_buffer
      - .address_space:  global
        .offset:         56
        .size:           8
        .value_kind:     global_buffer
      - .address_space:  global
        .offset:         64
        .size:           8
        .value_kind:     global_buffer
      - .address_space:  global
        .offset:         72
        .size:           8
        .value_kind:     global_buffer
      - .offset:         80
        .size:           4
        .value_kind:     by_value
      - .address_space:  global
        .offset:         88
        .size:           8
        .value_kind:     global_buffer
      - .address_space:  global
        .offset:         96
        .size:           8
        .value_kind:     global_buffer
    .group_segment_fixed_size: 28672
    .kernarg_segment_align: 8
    .kernarg_segment_size: 104
    .language:       OpenCL C
    .language_version:
      - 2
      - 0
    .max_flat_workgroup_size: 256
    .name:           bluestein_single_fwd_len112_dim1_dp_op_CI_CI
    .private_segment_fixed_size: 0
    .sgpr_count:     28
    .sgpr_spill_count: 0
    .symbol:         bluestein_single_fwd_len112_dim1_dp_op_CI_CI.kd
    .uniform_work_group_size: 1
    .uses_dynamic_stack: false
    .vgpr_count:     121
    .vgpr_spill_count: 0
    .wavefront_size: 64
amdhsa.target:   amdgcn-amd-amdhsa--gfx906
amdhsa.version:
  - 1
  - 2
...

	.end_amdgpu_metadata
